;; amdgpu-corpus repo=zjin-lcf/HeCBench kind=compiled arch=gfx906 opt=O3
	.amdgcn_target "amdgcn-amd-amdhsa--gfx906"
	.amdhsa_code_object_version 6
	.text
	.protected	_Z18sequence_aa_kernelbPKcS0_PKjS2_PsS3_S3_S3_S3_ssPKsS5_ ; -- Begin function _Z18sequence_aa_kernelbPKcS0_PKjS2_PsS3_S3_S3_S3_ssPKsS5_
	.globl	_Z18sequence_aa_kernelbPKcS0_PKjS2_PsS3_S3_S3_S3_ssPKsS5_
	.p2align	8
	.type	_Z18sequence_aa_kernelbPKcS0_PKjS2_PsS3_S3_S3_S3_ssPKsS5_,@function
_Z18sequence_aa_kernelbPKcS0_PKjS2_PsS3_S3_S3_S3_ssPKsS5_: ; @_Z18sequence_aa_kernelbPKcS0_PKjS2_PsS3_S3_S3_S3_ssPKsS5_
; %bb.0:
	s_load_dwordx8 s[8:15], s[4:5], 0x8
	s_cmp_lg_u32 s6, 0
	s_cbranch_scc0 .LBB0_69
; %bb.1:
	s_ashr_i32 s7, s6, 31
	s_lshl_b64 s[0:1], s[6:7], 2
	s_waitcnt lgkmcnt(0)
	s_add_u32 s2, s12, s0
	s_addc_u32 s3, s13, s1
	s_add_u32 s2, s2, -4
	s_addc_u32 s3, s3, -1
	s_load_dwordx2 s[16:17], s[2:3], 0x0
	s_waitcnt lgkmcnt(0)
	s_sub_i32 s38, s17, s16
	s_add_u32 s0, s14, s0
	s_addc_u32 s1, s15, s1
	s_add_u32 s0, s0, -4
	s_addc_u32 s1, s1, -1
	s_load_dwordx2 s[2:3], s[0:1], 0x0
	s_waitcnt lgkmcnt(0)
	s_sub_i32 s39, s3, s2
	s_add_u32 s28, s8, s16
	s_addc_u32 s29, s9, 0
	s_add_u32 s30, s10, s2
	s_addc_u32 s31, s11, 0
	s_load_dwordx2 s[16:17], s[4:5], 0x30
	s_load_dwordx2 s[18:19], s[4:5], 0x40
	s_cbranch_execnz .LBB0_3
.LBB0_2:
	s_waitcnt lgkmcnt(0)
	s_load_dword s38, s[12:13], 0x0
	s_load_dword s39, s[14:15], 0x0
	s_mov_b64 s[30:31], s[10:11]
	s_mov_b64 s[28:29], s[8:9]
.LBB0_3:
	s_load_dword s0, s[4:5], 0x0
	s_waitcnt lgkmcnt(0)
	s_bitcmp1_b32 s0, 0
	s_cselect_b64 s[0:1], -1, 0
	s_xor_b64 s[20:21], s[0:1], -1
	s_and_b64 vcc, exec, s[20:21]
	s_cbranch_vccnz .LBB0_5
; %bb.4:
	s_ashr_i32 s7, s6, 31
	s_lshl_b64 s[2:3], s[6:7], 1
	s_add_u32 s8, s18, s2
	s_addc_u32 s9, s19, s3
	s_add_u32 s2, s16, s2
	v_mov_b32_e32 v1, 0
	s_addc_u32 s3, s17, s3
	global_load_sshort v2, v1, s[2:3]
	global_load_sshort v3, v1, s[8:9]
	s_waitcnt vmcnt(1)
	v_readfirstlane_b32 s38, v2
	s_waitcnt vmcnt(0)
	v_readfirstlane_b32 s39, v3
.LBB0_5:
	s_load_dwordx4 s[8:11], s[4:5], 0x58
	s_load_dwordx2 s[22:23], s[4:5], 0x48
	s_load_dwordx2 s[12:13], s[4:5], 0x28
	;; [unrolled: 1-line block ×3, first 2 shown]
	s_min_u32 s33, s38, s39
	v_cmp_gt_u32_e64 s[2:3], s33, v0
	s_and_saveexec_b64 s[24:25], s[2:3]
	s_cbranch_execz .LBB0_8
; %bb.6:
	s_mov_b64 s[26:27], 0
	v_mov_b32_e32 v1, 0
	v_mov_b32_e32 v2, v0
.LBB0_7:                                ; =>This Inner Loop Header: Depth=1
	v_add_u32_e32 v3, 0x1ec0, v2
	v_add_u32_e32 v2, 32, v2
	v_cmp_le_u32_e32 vcc, s33, v2
	s_or_b64 s[26:27], vcc, s[26:27]
	ds_write_b8 v3, v1
	s_andn2_b64 exec, exec, s[26:27]
	s_cbranch_execnz .LBB0_7
.LBB0_8:
	s_or_b64 exec, exec, s[24:25]
	s_add_i32 s40, s33, 0x1ec0
	s_and_saveexec_b64 s[24:25], s[2:3]
	s_cbranch_execz .LBB0_11
; %bb.9:
	s_mov_b64 s[26:27], 0
	v_mov_b32_e32 v1, 1
	v_mov_b32_e32 v2, v0
.LBB0_10:                               ; =>This Inner Loop Header: Depth=1
	v_add_u32_e32 v3, s40, v2
	v_add_u32_e32 v2, 32, v2
	v_cmp_le_u32_e32 vcc, s33, v2
	s_or_b64 s[26:27], vcc, s[26:27]
	ds_write_b8 v3, v1
	s_andn2_b64 exec, exec, s[26:27]
	s_cbranch_execnz .LBB0_10
.LBB0_11:
	s_or_b64 exec, exec, s[24:25]
	s_add_i32 s40, s40, s33
	s_and_saveexec_b64 s[24:25], s[2:3]
	s_cbranch_execz .LBB0_14
; %bb.12:
	s_mov_b64 s[26:27], 0
	v_mov_b32_e32 v1, 0
	v_mov_b32_e32 v2, v0
.LBB0_13:                               ; =>This Inner Loop Header: Depth=1
	v_add_u32_e32 v3, s40, v2
	v_add_u32_e32 v2, 32, v2
	v_cmp_le_u32_e32 vcc, s33, v2
	s_or_b64 s[26:27], vcc, s[26:27]
	ds_write_b8 v3, v1
	s_andn2_b64 exec, exec, s[26:27]
	s_cbranch_execnz .LBB0_13
.LBB0_14:
	s_or_b64 exec, exec, s[24:25]
	s_cmp_ge_u32 s38, s39
	s_cselect_b64 s[24:25], -1, 0
	s_and_b64 vcc, exec, s[24:25]
	s_cbranch_vccz .LBB0_17
; %bb.15:
	v_cmp_gt_u32_e32 vcc, s39, v0
	s_and_b64 s[34:35], vcc, exec
	s_cbranch_execz .LBB0_18
; %bb.16:
	s_mov_b64 s[26:27], s[28:29]
	s_mov_b64 s[28:29], s[30:31]
	s_mov_b32 s7, s39
	v_mov_b32_e32 v6, 0
	s_and_saveexec_b64 s[30:31], s[34:35]
	s_cbranch_execnz .LBB0_19
	s_branch .LBB0_20
.LBB0_17:
	s_mov_b64 s[34:35], 0
.LBB0_18:
	v_cmp_gt_u32_e32 vcc, s38, v0
	s_andn2_b64 s[26:27], s[34:35], exec
	s_and_b64 s[34:35], vcc, exec
	s_or_b64 s[34:35], s[26:27], s[34:35]
	s_mov_b64 s[26:27], s[30:31]
	s_mov_b32 s7, s38
	v_mov_b32_e32 v6, 0
	s_and_saveexec_b64 s[30:31], s[34:35]
	s_cbranch_execz .LBB0_20
.LBB0_19:
	v_xad_u32 v1, v0, -1, s7
	v_cndmask_b32_e64 v1, v0, v1, s[0:1]
	global_load_sbyte v6, v1, s[28:29]
.LBB0_20:
	s_or_b64 exec, exec, s[30:31]
	s_waitcnt vmcnt(0) lgkmcnt(0)
	s_barrier
	s_load_dword s7, s[4:5], 0x74
	s_movk_i32 s28, 0x240
	v_cmp_gt_u32_e32 vcc, s28, v0
	s_waitcnt lgkmcnt(0)
	s_and_b32 s7, s7, 0xffff
	s_and_saveexec_b64 s[28:29], vcc
	s_cbranch_execz .LBB0_33
; %bb.21:
	s_movk_i32 s30, 0x23f
	v_cmp_ne_u32_e32 vcc, s30, v0
	s_and_b32 s30, s7, 0xffff
	s_cmp_eq_u32 s30, 1
	s_cselect_b64 s[30:31], -1, 0
	s_and_b64 s[36:37], vcc, s[30:31]
	s_mov_b64 s[34:35], -1
	v_mov_b32_e32 v3, v0
	s_and_saveexec_b64 s[30:31], s[36:37]
	s_cbranch_execz .LBB0_30
; %bb.22:
	v_sub_u32_e32 v1, 0x23e, v0
	v_lshrrev_b32_e32 v2, 1, v1
	v_add_u32_e32 v3, 1, v2
	v_cmp_lt_u32_e32 vcc, 13, v1
	v_mov_b32_e32 v1, 0
	s_and_saveexec_b64 s[34:35], vcc
	s_cbranch_execz .LBB0_26
; %bb.23:
	v_mov_b32_e32 v1, 0x1800
	v_and_b32_e32 v4, -8, v3
	v_lshl_or_b32 v5, v0, 1, v1
	s_mov_b32 s41, 0
	s_mov_b64 s[36:37], 0
	v_mov_b32_e32 v2, 0
	v_mov_b32_e32 v7, s9
.LBB0_24:                               ; =>This Inner Loop Header: Depth=1
	v_add_u32_e32 v1, s41, v0
	v_lshlrev_b64 v[20:21], 1, v[1:2]
	v_mov_b32_e32 v9, v2
	v_add_u32_e32 v8, 2, v1
	v_lshlrev_b64 v[8:9], 1, v[8:9]
	v_add_co_u32_e32 v20, vcc, s8, v20
	v_mov_b32_e32 v11, v2
	v_add_u32_e32 v10, 4, v1
	v_addc_co_u32_e32 v21, vcc, v7, v21, vcc
	v_lshlrev_b64 v[10:11], 1, v[10:11]
	v_add_co_u32_e32 v24, vcc, s8, v8
	v_mov_b32_e32 v13, v2
	v_add_u32_e32 v12, 6, v1
	v_addc_co_u32_e32 v25, vcc, v7, v9, vcc
	;; [unrolled: 5-line block ×5, first 2 shown]
	v_lshlrev_b64 v[18:19], 1, v[18:19]
	v_add_co_u32_e32 v16, vcc, s8, v16
	v_add_u32_e32 v1, 14, v1
	v_addc_co_u32_e32 v17, vcc, v7, v17, vcc
	v_lshlrev_b64 v[22:23], 1, v[1:2]
	v_add_co_u32_e32 v18, vcc, s8, v18
	v_addc_co_u32_e32 v19, vcc, v7, v19, vcc
	v_add_co_u32_e32 v22, vcc, s8, v22
	v_addc_co_u32_e32 v23, vcc, v7, v23, vcc
	global_load_dword v8, v[20:21], off
	global_load_dword v9, v[24:25], off
	;; [unrolled: 1-line block ×8, first 2 shown]
	v_add_u32_e32 v4, -8, v4
	s_add_i32 s41, s41, 16
	v_cmp_eq_u32_e32 vcc, 0, v4
	v_mov_b32_e32 v1, s41
	s_or_b64 s[36:37], vcc, s[36:37]
	s_waitcnt vmcnt(4)
	ds_write_b128 v5, v[8:11]
	s_waitcnt vmcnt(0)
	ds_write_b128 v5, v[12:15] offset:16
	v_add_u32_e32 v5, 32, v5
	s_andn2_b64 exec, exec, s[36:37]
	s_cbranch_execnz .LBB0_24
; %bb.25:
	s_or_b64 exec, exec, s[36:37]
.LBB0_26:
	s_or_b64 exec, exec, s[34:35]
	v_and_b32_e32 v2, 7, v3
	v_cmp_ne_u32_e32 vcc, 0, v2
	s_and_saveexec_b64 s[34:35], vcc
	s_cbranch_execz .LBB0_29
; %bb.27:
	v_add_u32_e32 v1, v0, v1
	v_mov_b32_e32 v3, 0x1800
	v_lshl_add_u32 v3, v1, 1, v3
	v_lshlrev_b32_e32 v4, 1, v2
	s_mov_b64 s[36:37], 0
	v_mov_b32_e32 v2, 0
	v_mov_b32_e32 v5, s9
.LBB0_28:                               ; =>This Inner Loop Header: Depth=1
	v_lshlrev_b64 v[7:8], 1, v[1:2]
	v_add_u32_e32 v4, -2, v4
	v_add_co_u32_e32 v7, vcc, s8, v7
	v_addc_co_u32_e32 v8, vcc, v5, v8, vcc
	global_load_dword v7, v[7:8], off
	v_cmp_eq_u32_e32 vcc, 0, v4
	v_add_u32_e32 v1, 2, v1
	s_or_b64 s[36:37], vcc, s[36:37]
	s_waitcnt vmcnt(0)
	ds_write_b32 v3, v7
	v_add_u32_e32 v3, 4, v3
	s_andn2_b64 exec, exec, s[36:37]
	s_cbranch_execnz .LBB0_28
.LBB0_29:
	s_or_b64 exec, exec, s[34:35]
	v_sub_u32_e32 v1, 0x240, v0
	v_and_b32_e32 v2, 0x3fe, v1
	v_cmp_ne_u32_e32 vcc, v1, v2
	v_add_u32_e32 v3, v0, v2
	s_orn2_b64 s[34:35], vcc, exec
.LBB0_30:
	s_or_b64 exec, exec, s[30:31]
	s_and_b64 exec, exec, s[34:35]
	s_cbranch_execz .LBB0_33
; %bb.31:
	v_lshlrev_b32_e32 v4, 1, v3
	v_mov_b32_e32 v2, s9
	v_add_co_u32_e32 v1, vcc, s8, v4
	v_addc_co_u32_e32 v2, vcc, 0, v2, vcc
	s_lshl_b32 s30, s7, 1
	v_add_u32_e32 v4, 0x1800, v4
	s_mov_b64 s[8:9], 0
	s_movk_i32 s31, 0x23f
.LBB0_32:                               ; =>This Inner Loop Header: Depth=1
	global_load_ushort v5, v[1:2], off
	v_add_co_u32_e32 v1, vcc, s30, v1
	v_add_u32_e32 v3, s7, v3
	v_addc_co_u32_e32 v2, vcc, 0, v2, vcc
	v_cmp_lt_u32_e32 vcc, s31, v3
	s_or_b64 s[8:9], vcc, s[8:9]
	s_waitcnt vmcnt(0)
	ds_write_b16 v4, v5
	v_add_u32_e32 v4, s30, v4
	s_andn2_b64 exec, exec, s[8:9]
	s_cbranch_execnz .LBB0_32
.LBB0_33:
	s_or_b64 exec, exec, s[28:29]
	s_movk_i32 s8, 0x5b
	v_cmp_gt_u32_e32 vcc, s8, v0
	s_and_saveexec_b64 s[8:9], vcc
	s_cbranch_execz .LBB0_46
; %bb.34:
	s_movk_i32 s28, 0x5a
	v_cmp_ne_u32_e32 vcc, s28, v0
	s_and_b32 s28, s7, 0xffff
	s_cmp_eq_u32 s28, 1
	s_cselect_b64 s[28:29], -1, 0
	s_and_b64 s[34:35], vcc, s[28:29]
	s_mov_b64 s[30:31], -1
	v_mov_b32_e32 v3, v0
	s_and_saveexec_b64 s[28:29], s[34:35]
	s_cbranch_execz .LBB0_43
; %bb.35:
	v_sub_u32_e32 v1, 0x59, v0
	v_lshrrev_b32_e32 v2, 1, v1
	v_add_u32_e32 v3, 1, v2
	v_cmp_lt_u32_e32 vcc, 13, v1
	v_mov_b32_e32 v1, 0
	s_and_saveexec_b64 s[30:31], vcc
	s_cbranch_execz .LBB0_39
; %bb.36:
	v_mov_b32_e32 v1, 0x1c80
	v_and_b32_e32 v4, -8, v3
	v_lshl_add_u32 v5, v0, 1, v1
	s_mov_b32 s36, 0
	s_mov_b64 s[34:35], 0
	v_mov_b32_e32 v2, 0
	v_mov_b32_e32 v7, s11
.LBB0_37:                               ; =>This Inner Loop Header: Depth=1
	v_add_u32_e32 v1, s36, v0
	v_lshlrev_b64 v[20:21], 1, v[1:2]
	v_mov_b32_e32 v9, v2
	v_add_u32_e32 v8, 2, v1
	v_lshlrev_b64 v[8:9], 1, v[8:9]
	v_add_co_u32_e32 v20, vcc, s10, v20
	v_mov_b32_e32 v11, v2
	v_add_u32_e32 v10, 4, v1
	v_addc_co_u32_e32 v21, vcc, v7, v21, vcc
	v_lshlrev_b64 v[10:11], 1, v[10:11]
	v_add_co_u32_e32 v24, vcc, s10, v8
	v_mov_b32_e32 v13, v2
	v_add_u32_e32 v12, 6, v1
	v_addc_co_u32_e32 v25, vcc, v7, v9, vcc
	;; [unrolled: 5-line block ×5, first 2 shown]
	v_lshlrev_b64 v[18:19], 1, v[18:19]
	v_add_co_u32_e32 v16, vcc, s10, v16
	v_add_u32_e32 v1, 14, v1
	v_addc_co_u32_e32 v17, vcc, v7, v17, vcc
	v_lshlrev_b64 v[22:23], 1, v[1:2]
	v_add_co_u32_e32 v18, vcc, s10, v18
	v_addc_co_u32_e32 v19, vcc, v7, v19, vcc
	v_add_co_u32_e32 v22, vcc, s10, v22
	v_addc_co_u32_e32 v23, vcc, v7, v23, vcc
	global_load_dword v8, v[20:21], off
	global_load_dword v9, v[24:25], off
	;; [unrolled: 1-line block ×8, first 2 shown]
	v_add_u32_e32 v4, -8, v4
	s_add_i32 s36, s36, 16
	v_cmp_eq_u32_e32 vcc, 0, v4
	v_mov_b32_e32 v1, s36
	s_or_b64 s[34:35], vcc, s[34:35]
	s_waitcnt vmcnt(4)
	ds_write_b128 v5, v[8:11]
	s_waitcnt vmcnt(0)
	ds_write_b128 v5, v[12:15] offset:16
	v_add_u32_e32 v5, 32, v5
	s_andn2_b64 exec, exec, s[34:35]
	s_cbranch_execnz .LBB0_37
; %bb.38:
	s_or_b64 exec, exec, s[34:35]
.LBB0_39:
	s_or_b64 exec, exec, s[30:31]
	v_and_b32_e32 v2, 7, v3
	v_cmp_ne_u32_e32 vcc, 0, v2
	s_and_saveexec_b64 s[30:31], vcc
	s_cbranch_execz .LBB0_42
; %bb.40:
	v_add_u32_e32 v1, v0, v1
	v_mov_b32_e32 v3, 0x1c80
	v_lshl_add_u32 v3, v1, 1, v3
	v_lshlrev_b32_e32 v4, 1, v2
	s_mov_b64 s[34:35], 0
	v_mov_b32_e32 v2, 0
	v_mov_b32_e32 v5, s11
.LBB0_41:                               ; =>This Inner Loop Header: Depth=1
	v_lshlrev_b64 v[7:8], 1, v[1:2]
	v_add_u32_e32 v4, -2, v4
	v_add_co_u32_e32 v7, vcc, s10, v7
	v_addc_co_u32_e32 v8, vcc, v5, v8, vcc
	global_load_dword v7, v[7:8], off
	v_cmp_eq_u32_e32 vcc, 0, v4
	v_add_u32_e32 v1, 2, v1
	s_or_b64 s[34:35], vcc, s[34:35]
	s_waitcnt vmcnt(0)
	ds_write_b32 v3, v7
	v_add_u32_e32 v3, 4, v3
	s_andn2_b64 exec, exec, s[34:35]
	s_cbranch_execnz .LBB0_41
.LBB0_42:
	s_or_b64 exec, exec, s[30:31]
	v_sub_u32_e32 v1, 0x5b, v0
	v_and_b32_e32 v2, 0x7e, v1
	v_cmp_ne_u32_e32 vcc, v1, v2
	v_add_u32_e32 v3, v0, v2
	s_orn2_b64 s[30:31], vcc, exec
.LBB0_43:
	s_or_b64 exec, exec, s[28:29]
	s_and_b64 exec, exec, s[30:31]
	s_cbranch_execz .LBB0_46
; %bb.44:
	v_lshlrev_b32_e32 v4, 1, v3
	v_mov_b32_e32 v2, s11
	v_add_co_u32_e32 v1, vcc, s10, v4
	v_addc_co_u32_e32 v2, vcc, 0, v2, vcc
	s_lshl_b32 s28, s7, 1
	v_add_u32_e32 v4, 0x1c80, v4
	s_mov_b64 s[10:11], 0
	s_movk_i32 s29, 0x5a
.LBB0_45:                               ; =>This Inner Loop Header: Depth=1
	global_load_ushort v5, v[1:2], off
	v_add_co_u32_e32 v1, vcc, s28, v1
	v_add_u32_e32 v3, s7, v3
	v_addc_co_u32_e32 v2, vcc, 0, v2, vcc
	v_cmp_lt_u32_e32 vcc, s29, v3
	s_or_b64 s[10:11], vcc, s[10:11]
	s_waitcnt vmcnt(0)
	ds_write_b16 v4, v5
	v_add_u32_e32 v4, s28, v4
	s_andn2_b64 exec, exec, s[10:11]
	s_cbranch_execnz .LBB0_45
.LBB0_46:
	s_or_b64 exec, exec, s[8:9]
	v_and_b32_e32 v5, 31, v0
	v_lshrrev_b32_e32 v1, 5, v0
	s_add_i32 s41, s39, s38
	s_cmp_eq_u32 s41, 1
	v_lshlrev_b32_e32 v4, 1, v1
	v_lshlrev_b32_e32 v3, 1, v0
	v_cmp_eq_u32_e32 vcc, 0, v5
	v_mbcnt_lo_u32_b32 v8, -1, 0
	s_waitcnt lgkmcnt(0)
	s_barrier
	s_cbranch_scc1 .LBB0_70
; %bb.47:
	s_load_dword s36, s[4:5], 0x50
	v_cmp_lt_u32_e64 s[8:9], 31, v0
	s_movk_i32 s28, 0x800
	s_and_b64 s[10:11], s[8:9], vcc
	v_subrev_co_u32_e64 v2, s[8:9], 1, v0
	v_add_u32_e32 v1, -1, v0
	v_lshl_add_u32 v14, v2, 1, s28
	s_movk_i32 s28, 0x1c80
	v_xad_u32 v2, v0, -1, s33
	v_add_u32_e32 v7, 1, v0
	v_and_b32_e32 v1, 31, v1
	v_lshl_add_u32 v6, v6, 1, s28
	v_cndmask_b32_e64 v17, v7, v2, s[0:1]
	s_movk_i32 s28, 0x60
	v_mbcnt_hi_u32_b32 v2, -1, v8
	v_and_or_b32 v1, v2, s28, v1
	s_max_u32 s37, s38, s39
	v_cmp_eq_u32_e64 s[4:5], 31, v5
	v_mov_b32_e32 v9, 1
	s_waitcnt lgkmcnt(0)
	s_lshr_b32 s38, s36, 16
	v_or_b32_e32 v10, 0x800, v3
	s_mov_b32 s39, 0
	v_add_u32_e32 v11, 0x1d7e, v4
	v_add_u32_e32 v12, 0x1dbe, v4
	v_add_u32_e32 v13, -2, v3
	v_add_u32_e32 v15, 0x1d3e, v4
	v_add_u32_e32 v16, 0xffe, v3
	s_add_i32 s41, s41, -1
	v_mov_b32_e32 v23, 0
	v_mov_b32_e32 v18, s40
	v_lshlrev_b32_e32 v19, 2, v1
	v_mov_b32_e32 v2, 0
	v_mov_b32_e32 v1, 0
	;; [unrolled: 1-line block ×7, first 2 shown]
	s_and_saveexec_b64 s[28:29], s[4:5]
	s_cbranch_execz .LBB0_49
.LBB0_48:
	v_or_b32_e32 v24, 0x1d80, v4
	ds_write_b16 v24, v23
	v_or_b32_e32 v24, 0x1dc0, v4
	ds_write_b16 v24, v20
	;; [unrolled: 2-line block ×3, first 2 shown]
.LBB0_49:                               ; =>This Inner Loop Header: Depth=1
	s_or_b64 exec, exec, s[28:29]
	s_cmp_ge_u32 s39, s37
	s_cselect_b64 s[28:29], -1, 0
	s_cmp_lt_u32 s39, s37
	s_cselect_b64 s[30:31], -1, 0
	s_and_b64 vcc, exec, s[30:31]
	s_cbranch_vccnz .LBB0_51
; %bb.50:                               ;   in Loop: Header=BB0_49 Depth=1
	v_or_b32_e32 v24, 0x1000, v3
	ds_write_b16 v3, v23
	ds_write_b16 v10, v20
	;; [unrolled: 1-line block ×3, first 2 shown]
.LBB0_51:                               ;   in Loop: Header=BB0_49 Depth=1
	s_cmp_lt_u32 s39, s33
	s_cselect_b64 s[34:35], -1, 0
	s_or_b64 s[28:29], s[34:35], s[28:29]
	v_cndmask_b32_e64 v24, 0, 1, s[28:29]
	v_sub_u32_e32 v18, v18, v24
	v_add_u32_e32 v24, v18, v0
	s_waitcnt lgkmcnt(0)
	s_barrier
	ds_read_u8 v25, v24
	v_mov_b32_e32 v24, 0
	v_mov_b32_e32 v26, 0
	s_waitcnt lgkmcnt(0)
	v_cmp_ne_u16_e32 vcc, 0, v25
	s_and_b64 s[34:35], s[2:3], vcc
	v_mov_b32_e32 v25, 0
	s_and_saveexec_b64 s[28:29], s[34:35]
	s_cbranch_execz .LBB0_67
; %bb.52:                               ;   in Loop: Header=BB0_49 Depth=1
	v_and_b32_e32 v24, 0xffff, v20
	v_bfe_i32 v23, v23, 0, 16
	ds_bpermute_b32 v23, v19, v23
	ds_bpermute_b32 v24, v19, v24
	s_mov_b64 s[34:35], -1
	s_and_b64 vcc, exec, s[30:31]
	s_cbranch_vccz .LBB0_58
; %bb.53:                               ;   in Loop: Header=BB0_49 Depth=1
	s_and_saveexec_b64 s[34:35], s[10:11]
	s_cbranch_execz .LBB0_55
; %bb.54:                               ;   in Loop: Header=BB0_49 Depth=1
	s_waitcnt lgkmcnt(1)
	ds_read_u16 v23, v11
.LBB0_55:                               ;   in Loop: Header=BB0_49 Depth=1
	s_or_b64 exec, exec, s[34:35]
	s_and_saveexec_b64 s[34:35], s[10:11]
	s_cbranch_execz .LBB0_57
; %bb.56:                               ;   in Loop: Header=BB0_49 Depth=1
	s_waitcnt lgkmcnt(0)
	ds_read_u16 v24, v12
.LBB0_57:                               ;   in Loop: Header=BB0_49 Depth=1
	s_or_b64 exec, exec, s[34:35]
	s_mov_b64 s[34:35], 0
.LBB0_58:                               ;   in Loop: Header=BB0_49 Depth=1
	s_and_b64 vcc, exec, s[34:35]
	s_cbranch_vccz .LBB0_60
; %bb.59:                               ;   in Loop: Header=BB0_49 Depth=1
	s_waitcnt lgkmcnt(0)
	ds_read_u16 v23, v13
	ds_read_u16 v24, v14
.LBB0_60:                               ;   in Loop: Header=BB0_49 Depth=1
	v_and_b32_e32 v22, 0xffff, v22
	ds_bpermute_b32 v22, v19, v22
	s_mov_b64 s[34:35], -1
	s_and_b64 vcc, exec, s[30:31]
	s_cbranch_vccz .LBB0_64
; %bb.61:                               ;   in Loop: Header=BB0_49 Depth=1
	s_and_saveexec_b64 s[30:31], s[10:11]
	s_cbranch_execz .LBB0_63
; %bb.62:                               ;   in Loop: Header=BB0_49 Depth=1
	s_waitcnt lgkmcnt(0)
	ds_read_u16 v22, v15
.LBB0_63:                               ;   in Loop: Header=BB0_49 Depth=1
	s_or_b64 exec, exec, s[30:31]
	s_mov_b64 s[34:35], 0
.LBB0_64:                               ;   in Loop: Header=BB0_49 Depth=1
	s_andn2_b64 vcc, exec, s[34:35]
	s_cbranch_vccnz .LBB0_66
; %bb.65:                               ;   in Loop: Header=BB0_49 Depth=1
	s_waitcnt lgkmcnt(0)
	ds_read_u16 v22, v16
.LBB0_66:                               ;   in Loop: Header=BB0_49 Depth=1
	v_sub_u32_e32 v27, s37, v9
	v_mov_b32_e32 v25, s27
	v_add_co_u32_e32 v28, vcc, s26, v27
	v_addc_co_u32_e32 v26, vcc, 0, v25, vcc
	v_ashrrev_i32_e32 v29, 31, v9
	v_add_co_u32_e32 v30, vcc, s26, v9
	v_addc_co_u32_e32 v25, vcc, v25, v29, vcc
	v_add_co_u32_e32 v29, vcc, -1, v30
	v_addc_co_u32_e32 v25, vcc, -1, v25, vcc
	v_cndmask_b32_e64 v26, v25, v26, s[0:1]
	v_cndmask_b32_e64 v25, v29, v28, s[0:1]
	global_load_sbyte v25, v[25:26], off
	v_add_u16_e32 v21, s38, v21
	v_add_u16_e32 v26, s36, v20
	s_waitcnt lgkmcnt(1)
	v_add_u16_e32 v24, s36, v24
	v_add_u16_e32 v23, s38, v23
	s_waitcnt lgkmcnt(0)
	v_cndmask_b32_e64 v22, v22, 0, s[8:9]
	v_cndmask_b32_e64 v23, v23, 0, s[8:9]
	v_cndmask_b32_e64 v24, v24, 0, s[8:9]
	s_waitcnt vmcnt(0)
	v_lshlrev_b32_e32 v25, 1, v25
	ds_read_i16 v28, v6
	ds_read_i16 v25, v25 offset:7296
	s_waitcnt lgkmcnt(1)
	v_lshlrev_b32_e32 v28, 1, v28
	s_waitcnt lgkmcnt(0)
	v_mad_i32_i24 v25, v25, 48, v28
	ds_read_u16 v28, v25 offset:6144
	v_max_i16_e32 v25, v21, v26
	v_max_i16_e32 v26, v23, v24
	v_cndmask_b32_e64 v21, v9, v27, s[0:1]
	v_add_u32_e32 v9, 1, v9
	s_waitcnt lgkmcnt(0)
	v_add_u16_e32 v22, v28, v22
	v_max_i16_e32 v22, v22, v25
	v_max3_i16 v24, v22, v26, 0
	v_cmp_lt_i16_e32 vcc, v7, v24
	v_max_i16_e32 v7, v7, v24
	v_cndmask_b32_e32 v2, v2, v21, vcc
	v_cndmask_b32_e32 v1, v1, v17, vcc
.LBB0_67:                               ;   in Loop: Header=BB0_49 Depth=1
	s_or_b64 exec, exec, s[28:29]
	s_add_i32 s39, s39, 1
	s_cmp_eq_u32 s41, s39
	s_barrier
	s_cbranch_scc1 .LBB0_71
; %bb.68:                               ;   in Loop: Header=BB0_49 Depth=1
	v_mov_b32_e32 v23, v26
	v_mov_b32_e32 v22, v20
	v_mov_b32_e32 v21, v25
	v_mov_b32_e32 v20, v24
	s_and_saveexec_b64 s[28:29], s[4:5]
	s_cbranch_execnz .LBB0_48
	s_branch .LBB0_49
.LBB0_69:
                                        ; implicit-def: $sgpr38
                                        ; implicit-def: $sgpr39
                                        ; implicit-def: $sgpr28_sgpr29
                                        ; implicit-def: $sgpr30_sgpr31
	s_load_dwordx2 s[16:17], s[4:5], 0x30
	s_load_dwordx2 s[18:19], s[4:5], 0x40
	s_branch .LBB0_2
.LBB0_70:
	v_mov_b32_e32 v2, 0
	v_mov_b32_e32 v1, 0
	;; [unrolled: 1-line block ×3, first 2 shown]
.LBB0_71:
	v_mbcnt_hi_u32_b32 v10, -1, v8
	v_and_b32_e32 v11, 63, v10
	v_cmp_gt_u32_e32 vcc, 48, v11
	v_cndmask_b32_e64 v6, 0, 16, vcc
	v_and_b32_e32 v12, 0xffff, v7
	v_add_lshl_u32 v6, v6, v10, 2
	ds_bpermute_b32 v16, v6, v12
	v_bfe_i32 v17, v2, 0, 16
	v_bfe_i32 v9, v1, 0, 16
	ds_bpermute_b32 v13, v6, v17
	ds_bpermute_b32 v8, v6, v9
	s_waitcnt lgkmcnt(2)
	v_cmp_lt_i32_sdwa vcc, sext(v16), v12 src0_sel:WORD_0 src1_sel:DWORD
	v_cndmask_b32_e32 v15, v16, v7, vcc
	v_cmp_eq_u16_e32 vcc, v15, v7
	v_mov_b32_e32 v14, v15
	s_and_saveexec_b64 s[0:1], vcc
	s_cbranch_execz .LBB0_78
; %bb.72:
	v_cmp_eq_u32_sdwa s[4:5], sext(v16), v12 src0_sel:WORD_0 src1_sel:DWORD
	v_mov_b32_e32 v12, v1
	v_mov_b32_e32 v16, v2
	s_and_saveexec_b64 s[2:3], s[4:5]
	s_cbranch_execz .LBB0_77
; %bb.73:
	s_and_b64 vcc, exec, s[20:21]
	s_cbranch_vccz .LBB0_75
; %bb.74:
	s_waitcnt lgkmcnt(1)
	v_cmp_lt_i32_sdwa vcc, sext(v13), v17 src0_sel:WORD_0 src1_sel:DWORD
	v_cndmask_b32_e32 v16, v2, v13, vcc
	s_waitcnt lgkmcnt(0)
	v_cndmask_b32_e32 v12, v1, v8, vcc
	s_cbranch_execz .LBB0_76
	s_branch .LBB0_77
.LBB0_75:
                                        ; implicit-def: $vgpr12
                                        ; implicit-def: $vgpr16
.LBB0_76:
	s_waitcnt lgkmcnt(0)
	v_cmp_gt_i32_sdwa vcc, sext(v8), v9 src0_sel:WORD_0 src1_sel:DWORD
	v_cndmask_b32_e32 v16, v2, v13, vcc
	v_cndmask_b32_e32 v12, v1, v8, vcc
.LBB0_77:
	s_or_b64 exec, exec, s[2:3]
	v_mov_b32_e32 v14, v7
	s_waitcnt lgkmcnt(1)
	v_mov_b32_e32 v13, v16
	s_waitcnt lgkmcnt(0)
	v_mov_b32_e32 v8, v12
.LBB0_78:
	s_or_b64 exec, exec, s[0:1]
	v_cmp_gt_u32_e32 vcc, 56, v11
	v_cndmask_b32_e64 v7, 0, 8, vcc
	v_bfe_i32 v16, v15, 0, 16
	v_add_lshl_u32 v7, v7, v10, 2
	ds_bpermute_b32 v19, v7, v16
	s_waitcnt lgkmcnt(2)
	v_bfe_i32 v18, v13, 0, 16
	s_waitcnt lgkmcnt(1)
	v_bfe_i32 v17, v8, 0, 16
	ds_bpermute_b32 v12, v7, v18
	ds_bpermute_b32 v9, v7, v17
	s_waitcnt lgkmcnt(2)
	v_cmp_lt_i32_sdwa vcc, sext(v19), v16 src0_sel:WORD_0 src1_sel:DWORD
	v_cndmask_b32_e32 v16, v19, v15, vcc
	v_cmp_eq_u16_e32 vcc, v16, v14
	v_mov_b32_e32 v15, v16
	s_and_saveexec_b64 s[0:1], vcc
	s_cbranch_execz .LBB0_86
; %bb.79:
	v_cmp_eq_u32_sdwa s[4:5], sext(v19), sext(v14) src0_sel:WORD_0 src1_sel:WORD_0
	s_and_saveexec_b64 s[2:3], s[4:5]
	s_cbranch_execz .LBB0_85
; %bb.80:
	s_andn2_b64 vcc, exec, s[20:21]
	s_cbranch_vccnz .LBB0_82
; %bb.81:
	s_waitcnt lgkmcnt(1)
	v_cmp_lt_i32_sdwa vcc, sext(v12), v18 src0_sel:WORD_0 src1_sel:DWORD
	v_cndmask_b32_e32 v15, v13, v12, vcc
	s_waitcnt lgkmcnt(0)
	v_cndmask_b32_e32 v18, v8, v9, vcc
	s_cbranch_execz .LBB0_83
	s_branch .LBB0_84
.LBB0_82:
                                        ; implicit-def: $vgpr18
                                        ; implicit-def: $vgpr15
.LBB0_83:
	s_waitcnt lgkmcnt(0)
	v_cmp_gt_i32_sdwa vcc, sext(v9), v17 src0_sel:WORD_0 src1_sel:DWORD
	v_cndmask_b32_e32 v15, v13, v12, vcc
	v_cndmask_b32_e32 v18, v8, v9, vcc
.LBB0_84:
	v_mov_b32_e32 v8, v18
	v_mov_b32_e32 v13, v15
.LBB0_85:
	s_or_b64 exec, exec, s[2:3]
	v_mov_b32_e32 v15, v14
	s_waitcnt lgkmcnt(1)
	v_mov_b32_e32 v12, v13
	s_waitcnt lgkmcnt(0)
	v_mov_b32_e32 v9, v8
.LBB0_86:
	s_or_b64 exec, exec, s[0:1]
	v_cmp_gt_u32_e32 vcc, 60, v11
	v_cndmask_b32_e64 v8, 0, 4, vcc
	v_bfe_i32 v17, v16, 0, 16
	v_add_lshl_u32 v8, v8, v10, 2
	ds_bpermute_b32 v20, v8, v17
	s_waitcnt lgkmcnt(2)
	v_bfe_i32 v19, v12, 0, 16
	s_waitcnt lgkmcnt(1)
	v_bfe_i32 v18, v9, 0, 16
	ds_bpermute_b32 v14, v8, v19
	ds_bpermute_b32 v13, v8, v18
	s_waitcnt lgkmcnt(2)
	v_cmp_lt_i32_sdwa vcc, sext(v20), v17 src0_sel:WORD_0 src1_sel:DWORD
	v_cndmask_b32_e32 v17, v20, v16, vcc
	v_cmp_eq_u16_e32 vcc, v17, v15
	v_mov_b32_e32 v16, v17
	s_and_saveexec_b64 s[0:1], vcc
	s_cbranch_execz .LBB0_94
; %bb.87:
	v_cmp_eq_u32_sdwa s[4:5], sext(v20), sext(v15) src0_sel:WORD_0 src1_sel:WORD_0
	s_and_saveexec_b64 s[2:3], s[4:5]
	s_cbranch_execz .LBB0_93
; %bb.88:
	s_andn2_b64 vcc, exec, s[20:21]
	s_cbranch_vccnz .LBB0_90
; %bb.89:
	s_waitcnt lgkmcnt(1)
	v_cmp_lt_i32_sdwa vcc, sext(v14), v19 src0_sel:WORD_0 src1_sel:DWORD
	v_cndmask_b32_e32 v16, v12, v14, vcc
	s_waitcnt lgkmcnt(0)
	v_cndmask_b32_e32 v19, v9, v13, vcc
	s_cbranch_execz .LBB0_91
	s_branch .LBB0_92
.LBB0_90:
                                        ; implicit-def: $vgpr19
                                        ; implicit-def: $vgpr16
.LBB0_91:
	s_waitcnt lgkmcnt(0)
	v_cmp_gt_i32_sdwa vcc, sext(v13), v18 src0_sel:WORD_0 src1_sel:DWORD
	v_cndmask_b32_e32 v16, v12, v14, vcc
	v_cndmask_b32_e32 v19, v9, v13, vcc
.LBB0_92:
	v_mov_b32_e32 v9, v19
	v_mov_b32_e32 v12, v16
.LBB0_93:
	s_or_b64 exec, exec, s[2:3]
	v_mov_b32_e32 v16, v15
	s_waitcnt lgkmcnt(1)
	v_mov_b32_e32 v14, v12
	s_waitcnt lgkmcnt(0)
	v_mov_b32_e32 v13, v9
.LBB0_94:
	s_or_b64 exec, exec, s[0:1]
	v_cmp_gt_u32_e32 vcc, 62, v11
	v_cndmask_b32_e64 v9, 0, 2, vcc
	v_bfe_i32 v18, v17, 0, 16
	v_add_lshl_u32 v9, v9, v10, 2
	ds_bpermute_b32 v21, v9, v18
	s_waitcnt lgkmcnt(2)
	v_bfe_i32 v20, v14, 0, 16
	s_waitcnt lgkmcnt(1)
	v_bfe_i32 v19, v13, 0, 16
	ds_bpermute_b32 v15, v9, v20
	ds_bpermute_b32 v12, v9, v19
	s_waitcnt lgkmcnt(2)
	v_cmp_lt_i32_sdwa vcc, sext(v21), v18 src0_sel:WORD_0 src1_sel:DWORD
	v_cndmask_b32_e32 v18, v21, v17, vcc
	v_cmp_eq_u16_e32 vcc, v18, v16
	v_mov_b32_e32 v17, v18
	s_and_saveexec_b64 s[0:1], vcc
	s_cbranch_execz .LBB0_102
; %bb.95:
	v_cmp_eq_u32_sdwa s[4:5], sext(v21), sext(v16) src0_sel:WORD_0 src1_sel:WORD_0
	s_and_saveexec_b64 s[2:3], s[4:5]
	s_cbranch_execz .LBB0_101
; %bb.96:
	s_andn2_b64 vcc, exec, s[20:21]
	s_cbranch_vccnz .LBB0_98
; %bb.97:
	s_waitcnt lgkmcnt(1)
	v_cmp_lt_i32_sdwa vcc, sext(v15), v20 src0_sel:WORD_0 src1_sel:DWORD
	v_cndmask_b32_e32 v17, v14, v15, vcc
	s_waitcnt lgkmcnt(0)
	v_cndmask_b32_e32 v20, v13, v12, vcc
	s_cbranch_execz .LBB0_99
	s_branch .LBB0_100
.LBB0_98:
                                        ; implicit-def: $vgpr20
                                        ; implicit-def: $vgpr17
.LBB0_99:
	s_waitcnt lgkmcnt(0)
	v_cmp_gt_i32_sdwa vcc, sext(v12), v19 src0_sel:WORD_0 src1_sel:DWORD
	v_cndmask_b32_e32 v17, v14, v15, vcc
	v_cndmask_b32_e32 v20, v13, v12, vcc
.LBB0_100:
	v_mov_b32_e32 v13, v20
	v_mov_b32_e32 v14, v17
.LBB0_101:
	s_or_b64 exec, exec, s[2:3]
	v_mov_b32_e32 v17, v16
	s_waitcnt lgkmcnt(1)
	v_mov_b32_e32 v15, v14
	s_waitcnt lgkmcnt(0)
	v_mov_b32_e32 v12, v13
.LBB0_102:
	s_or_b64 exec, exec, s[0:1]
	v_cmp_ne_u32_e32 vcc, 63, v11
	v_addc_co_u32_e32 v10, vcc, 0, v10, vcc
	v_bfe_i32 v20, v18, 0, 16
	v_lshlrev_b32_e32 v10, 2, v10
	ds_bpermute_b32 v19, v10, v20
	s_waitcnt lgkmcnt(2)
	v_bfe_i32 v16, v15, 0, 16
	s_waitcnt lgkmcnt(1)
	v_bfe_i32 v14, v12, 0, 16
	ds_bpermute_b32 v11, v10, v16
	ds_bpermute_b32 v13, v10, v14
	s_waitcnt lgkmcnt(2)
	v_cmp_lt_i32_sdwa vcc, sext(v19), v20 src0_sel:WORD_0 src1_sel:DWORD
	v_cndmask_b32_e32 v18, v19, v18, vcc
	v_cmp_eq_u16_e32 vcc, v18, v17
	s_and_saveexec_b64 s[0:1], vcc
	s_cbranch_execz .LBB0_110
; %bb.103:
	v_cmp_eq_u32_sdwa s[4:5], sext(v19), sext(v17) src0_sel:WORD_0 src1_sel:WORD_0
	s_and_saveexec_b64 s[2:3], s[4:5]
	s_cbranch_execz .LBB0_109
; %bb.104:
	s_andn2_b64 vcc, exec, s[20:21]
	s_cbranch_vccnz .LBB0_106
; %bb.105:
	s_waitcnt lgkmcnt(1)
	v_cmp_lt_i32_sdwa vcc, sext(v11), v16 src0_sel:WORD_0 src1_sel:DWORD
	v_cndmask_b32_e32 v16, v15, v11, vcc
	s_waitcnt lgkmcnt(0)
	v_cndmask_b32_e32 v18, v12, v13, vcc
	s_cbranch_execz .LBB0_107
	s_branch .LBB0_108
.LBB0_106:
                                        ; implicit-def: $vgpr18
                                        ; implicit-def: $vgpr16
.LBB0_107:
	s_waitcnt lgkmcnt(0)
	v_cmp_gt_i32_sdwa vcc, sext(v13), v14 src0_sel:WORD_0 src1_sel:DWORD
	v_cndmask_b32_e32 v16, v15, v11, vcc
	v_cndmask_b32_e32 v18, v12, v13, vcc
.LBB0_108:
	v_mov_b32_e32 v12, v18
	v_mov_b32_e32 v15, v16
.LBB0_109:
	s_or_b64 exec, exec, s[2:3]
	v_mov_b32_e32 v18, v17
	s_waitcnt lgkmcnt(1)
	v_mov_b32_e32 v11, v15
	s_waitcnt lgkmcnt(0)
	v_mov_b32_e32 v13, v12
.LBB0_110:
	s_or_b64 exec, exec, s[0:1]
	v_cmp_eq_u32_e32 vcc, 0, v5
	s_and_saveexec_b64 s[0:1], vcc
	s_cbranch_execz .LBB0_112
; %bb.111:
	ds_write_b16 v4, v18 offset:7744
	s_waitcnt lgkmcnt(2)
	ds_write_b16 v4, v11 offset:7680
	s_waitcnt lgkmcnt(2)
	ds_write_b16 v4, v13 offset:7808
.LBB0_112:
	s_or_b64 exec, exec, s[0:1]
	s_add_i32 s7, s7, 31
	s_lshr_b32 s0, s7, 5
	v_cmp_gt_u32_e32 vcc, s0, v0
	v_mov_b32_e32 v4, 0
	s_waitcnt lgkmcnt(1)
	v_mov_b32_e32 v11, -1
	v_mov_b32_e32 v5, -1
	s_waitcnt lgkmcnt(0)
	s_barrier
	s_and_saveexec_b64 s[0:1], vcc
	s_cbranch_execz .LBB0_114
; %bb.113:
	ds_read_u16 v4, v3 offset:7744
	ds_read_u16 v5, v3 offset:7808
	;; [unrolled: 1-line block ×3, first 2 shown]
.LBB0_114:
	s_or_b64 exec, exec, s[0:1]
	v_cmp_gt_u32_e32 vcc, 32, v0
	s_waitcnt lgkmcnt(0)
	s_barrier
	s_and_saveexec_b64 s[0:1], vcc
	s_cbranch_execz .LBB0_156
; %bb.115:
	v_bfe_i32 v14, v4, 0, 16
	ds_bpermute_b32 v15, v6, v14
	v_bfe_i32 v13, v11, 0, 16
	v_bfe_i32 v2, v5, 0, 16
	ds_bpermute_b32 v3, v6, v13
	ds_bpermute_b32 v1, v6, v2
	s_waitcnt lgkmcnt(2)
	v_cmp_lt_i32_sdwa vcc, sext(v15), v14 src0_sel:WORD_0 src1_sel:DWORD
	v_cndmask_b32_e32 v12, v15, v4, vcc
	v_cmp_eq_u16_e32 vcc, v12, v4
	v_mov_b32_e32 v6, v12
	s_and_saveexec_b64 s[2:3], vcc
	s_cbranch_execz .LBB0_123
; %bb.116:
	v_cmp_eq_u32_sdwa s[8:9], sext(v15), v14 src0_sel:WORD_0 src1_sel:DWORD
	s_and_saveexec_b64 s[4:5], s[8:9]
	s_cbranch_execz .LBB0_122
; %bb.117:
	s_and_b64 vcc, exec, s[20:21]
	s_cbranch_vccz .LBB0_119
; %bb.118:
	s_waitcnt lgkmcnt(1)
	v_cmp_lt_i32_sdwa vcc, sext(v3), v13 src0_sel:WORD_0 src1_sel:DWORD
	v_cndmask_b32_e32 v6, v11, v3, vcc
	s_waitcnt lgkmcnt(0)
	v_cndmask_b32_e32 v13, v5, v1, vcc
	s_cbranch_execz .LBB0_120
	s_branch .LBB0_121
.LBB0_119:
                                        ; implicit-def: $vgpr13
                                        ; implicit-def: $vgpr6
.LBB0_120:
	s_waitcnt lgkmcnt(0)
	v_cmp_gt_i32_sdwa vcc, sext(v1), v2 src0_sel:WORD_0 src1_sel:DWORD
	v_cndmask_b32_e32 v6, v11, v3, vcc
	v_cndmask_b32_e32 v13, v5, v1, vcc
.LBB0_121:
	v_mov_b32_e32 v5, v13
	v_mov_b32_e32 v11, v6
.LBB0_122:
	s_or_b64 exec, exec, s[4:5]
	v_mov_b32_e32 v6, v4
	s_waitcnt lgkmcnt(1)
	v_mov_b32_e32 v3, v11
	s_waitcnt lgkmcnt(0)
	v_mov_b32_e32 v1, v5
.LBB0_123:
	s_or_b64 exec, exec, s[2:3]
	v_bfe_i32 v5, v12, 0, 16
	ds_bpermute_b32 v14, v7, v5
	s_waitcnt lgkmcnt(2)
	v_bfe_i32 v13, v3, 0, 16
	s_waitcnt lgkmcnt(1)
	v_bfe_i32 v11, v1, 0, 16
	ds_bpermute_b32 v4, v7, v13
	ds_bpermute_b32 v2, v7, v11
	s_waitcnt lgkmcnt(2)
	v_cmp_lt_i32_sdwa vcc, sext(v14), v5 src0_sel:WORD_0 src1_sel:DWORD
	v_cndmask_b32_e32 v7, v14, v12, vcc
	v_cmp_eq_u16_e32 vcc, v7, v6
	v_mov_b32_e32 v5, v7
	s_and_saveexec_b64 s[2:3], vcc
	s_cbranch_execz .LBB0_131
; %bb.124:
	v_cmp_eq_u32_sdwa s[8:9], sext(v14), sext(v6) src0_sel:WORD_0 src1_sel:WORD_0
	s_and_saveexec_b64 s[4:5], s[8:9]
	s_cbranch_execz .LBB0_130
; %bb.125:
	s_andn2_b64 vcc, exec, s[20:21]
	s_cbranch_vccnz .LBB0_127
; %bb.126:
	s_waitcnt lgkmcnt(1)
	v_cmp_lt_i32_sdwa vcc, sext(v4), v13 src0_sel:WORD_0 src1_sel:DWORD
	v_cndmask_b32_e32 v5, v3, v4, vcc
	s_waitcnt lgkmcnt(0)
	v_cndmask_b32_e32 v12, v1, v2, vcc
	s_cbranch_execz .LBB0_128
	s_branch .LBB0_129
.LBB0_127:
                                        ; implicit-def: $vgpr12
                                        ; implicit-def: $vgpr5
.LBB0_128:
	s_waitcnt lgkmcnt(0)
	v_cmp_gt_i32_sdwa vcc, sext(v2), v11 src0_sel:WORD_0 src1_sel:DWORD
	v_cndmask_b32_e32 v5, v3, v4, vcc
	v_cndmask_b32_e32 v12, v1, v2, vcc
.LBB0_129:
	v_mov_b32_e32 v1, v12
	v_mov_b32_e32 v3, v5
.LBB0_130:
	s_or_b64 exec, exec, s[4:5]
	v_mov_b32_e32 v5, v6
	s_waitcnt lgkmcnt(1)
	v_mov_b32_e32 v4, v3
	s_waitcnt lgkmcnt(0)
	v_mov_b32_e32 v2, v1
.LBB0_131:
	s_or_b64 exec, exec, s[2:3]
	v_bfe_i32 v13, v7, 0, 16
	ds_bpermute_b32 v12, v8, v13
	s_waitcnt lgkmcnt(2)
	v_bfe_i32 v11, v4, 0, 16
	s_waitcnt lgkmcnt(1)
	v_bfe_i32 v6, v2, 0, 16
	ds_bpermute_b32 v3, v8, v11
	ds_bpermute_b32 v1, v8, v6
	s_waitcnt lgkmcnt(2)
	v_cmp_lt_i32_sdwa vcc, sext(v12), v13 src0_sel:WORD_0 src1_sel:DWORD
	v_cndmask_b32_e32 v8, v12, v7, vcc
	v_cmp_eq_u16_e32 vcc, v8, v5
	v_mov_b32_e32 v7, v8
	s_and_saveexec_b64 s[2:3], vcc
	s_cbranch_execz .LBB0_139
; %bb.132:
	v_cmp_eq_u32_sdwa s[8:9], sext(v12), sext(v5) src0_sel:WORD_0 src1_sel:WORD_0
	s_and_saveexec_b64 s[4:5], s[8:9]
	s_cbranch_execz .LBB0_138
; %bb.133:
	s_andn2_b64 vcc, exec, s[20:21]
	s_cbranch_vccnz .LBB0_135
; %bb.134:
	s_waitcnt lgkmcnt(1)
	v_cmp_lt_i32_sdwa vcc, sext(v3), v11 src0_sel:WORD_0 src1_sel:DWORD
	v_cndmask_b32_e32 v7, v4, v3, vcc
	s_waitcnt lgkmcnt(0)
	v_cndmask_b32_e32 v11, v2, v1, vcc
	s_cbranch_execz .LBB0_136
	s_branch .LBB0_137
.LBB0_135:
                                        ; implicit-def: $vgpr11
                                        ; implicit-def: $vgpr7
.LBB0_136:
	s_waitcnt lgkmcnt(0)
	v_cmp_gt_i32_sdwa vcc, sext(v1), v6 src0_sel:WORD_0 src1_sel:DWORD
	v_cndmask_b32_e32 v7, v4, v3, vcc
	v_cndmask_b32_e32 v11, v2, v1, vcc
.LBB0_137:
	v_mov_b32_e32 v2, v11
	v_mov_b32_e32 v4, v7
.LBB0_138:
	s_or_b64 exec, exec, s[4:5]
	v_mov_b32_e32 v7, v5
	s_waitcnt lgkmcnt(1)
	v_mov_b32_e32 v3, v4
	s_waitcnt lgkmcnt(0)
	v_mov_b32_e32 v1, v2
.LBB0_139:
	s_or_b64 exec, exec, s[2:3]
	v_bfe_i32 v4, v8, 0, 16
	ds_bpermute_b32 v12, v9, v4
	s_waitcnt lgkmcnt(2)
	v_bfe_i32 v11, v3, 0, 16
	s_waitcnt lgkmcnt(1)
	v_bfe_i32 v2, v1, 0, 16
	ds_bpermute_b32 v6, v9, v11
	ds_bpermute_b32 v5, v9, v2
	s_waitcnt lgkmcnt(2)
	v_cmp_lt_i32_sdwa vcc, sext(v12), v4 src0_sel:WORD_0 src1_sel:DWORD
	v_cndmask_b32_e32 v4, v12, v8, vcc
	v_cmp_eq_u16_e32 vcc, v4, v7
	v_mov_b32_e32 v8, v4
	s_and_saveexec_b64 s[2:3], vcc
	s_cbranch_execz .LBB0_147
; %bb.140:
	v_cmp_eq_u32_sdwa s[8:9], sext(v12), sext(v7) src0_sel:WORD_0 src1_sel:WORD_0
	s_and_saveexec_b64 s[4:5], s[8:9]
	s_cbranch_execz .LBB0_146
; %bb.141:
	s_andn2_b64 vcc, exec, s[20:21]
	s_cbranch_vccnz .LBB0_143
; %bb.142:
	s_waitcnt lgkmcnt(1)
	v_cmp_lt_i32_sdwa vcc, sext(v6), v11 src0_sel:WORD_0 src1_sel:DWORD
	v_cndmask_b32_e32 v8, v3, v6, vcc
	s_waitcnt lgkmcnt(0)
	v_cndmask_b32_e32 v9, v1, v5, vcc
	s_cbranch_execz .LBB0_144
	s_branch .LBB0_145
.LBB0_143:
                                        ; implicit-def: $vgpr9
                                        ; implicit-def: $vgpr8
.LBB0_144:
	s_waitcnt lgkmcnt(0)
	v_cmp_gt_i32_sdwa vcc, sext(v5), v2 src0_sel:WORD_0 src1_sel:DWORD
	v_cndmask_b32_e32 v8, v3, v6, vcc
	v_cndmask_b32_e32 v9, v1, v5, vcc
.LBB0_145:
	v_mov_b32_e32 v1, v9
	v_mov_b32_e32 v3, v8
.LBB0_146:
	s_or_b64 exec, exec, s[4:5]
	v_mov_b32_e32 v8, v7
	s_waitcnt lgkmcnt(1)
	v_mov_b32_e32 v6, v3
	s_waitcnt lgkmcnt(0)
	v_mov_b32_e32 v5, v1
.LBB0_147:
	s_or_b64 exec, exec, s[2:3]
	v_bfe_i32 v11, v4, 0, 16
	ds_bpermute_b32 v9, v10, v11
	s_waitcnt lgkmcnt(2)
	v_bfe_i32 v7, v6, 0, 16
	s_waitcnt lgkmcnt(1)
	v_bfe_i32 v3, v5, 0, 16
	ds_bpermute_b32 v2, v10, v7
	ds_bpermute_b32 v1, v10, v3
	s_waitcnt lgkmcnt(2)
	v_cmp_lt_i32_sdwa vcc, sext(v9), v11 src0_sel:WORD_0 src1_sel:DWORD
	v_cndmask_b32_e32 v4, v9, v4, vcc
	v_cmp_eq_u16_e32 vcc, v4, v8
	s_and_saveexec_b64 s[2:3], vcc
	s_cbranch_execz .LBB0_155
; %bb.148:
	v_cmp_eq_u32_sdwa s[8:9], sext(v9), sext(v8) src0_sel:WORD_0 src1_sel:WORD_0
	s_and_saveexec_b64 s[4:5], s[8:9]
	s_cbranch_execz .LBB0_154
; %bb.149:
	s_andn2_b64 vcc, exec, s[20:21]
	s_cbranch_vccnz .LBB0_151
; %bb.150:
	s_waitcnt lgkmcnt(1)
	v_cmp_lt_i32_sdwa vcc, sext(v2), v7 src0_sel:WORD_0 src1_sel:DWORD
	v_cndmask_b32_e32 v4, v6, v2, vcc
	s_waitcnt lgkmcnt(0)
	v_cndmask_b32_e32 v7, v5, v1, vcc
	s_cbranch_execz .LBB0_152
	s_branch .LBB0_153
.LBB0_151:
                                        ; implicit-def: $vgpr7
                                        ; implicit-def: $vgpr4
.LBB0_152:
	s_waitcnt lgkmcnt(0)
	v_cmp_gt_i32_sdwa vcc, sext(v1), v3 src0_sel:WORD_0 src1_sel:DWORD
	v_cndmask_b32_e32 v4, v6, v2, vcc
	v_cndmask_b32_e32 v7, v5, v1, vcc
.LBB0_153:
	v_mov_b32_e32 v5, v7
	v_mov_b32_e32 v6, v4
.LBB0_154:
	s_or_b64 exec, exec, s[4:5]
	v_mov_b32_e32 v4, v8
	s_waitcnt lgkmcnt(0)
	v_mov_b32_e32 v1, v5
	v_mov_b32_e32 v2, v6
.LBB0_155:
	s_or_b64 exec, exec, s[2:3]
.LBB0_156:
	s_or_b64 exec, exec, s[0:1]
	v_cmp_eq_u32_e64 s[0:1], 0, v0
	s_mov_b64 s[2:3], -1
	s_and_b64 vcc, exec, s[20:21]
	s_cbranch_vccz .LBB0_163
; %bb.157:
	s_and_saveexec_b64 s[2:3], s[0:1]
	s_cbranch_execz .LBB0_162
; %bb.158:
	s_ashr_i32 s7, s6, 31
	s_lshl_b64 s[8:9], s[6:7], 1
	s_add_u32 s4, s22, s8
	s_addc_u32 s5, s23, s9
	s_mov_b64 s[10:11], -1
	s_and_b64 vcc, exec, s[24:25]
	s_cbranch_vccz .LBB0_160
; %bb.159:
	s_add_u32 s10, s16, s8
	s_addc_u32 s11, s17, s9
	v_mov_b32_e32 v0, 0
	s_waitcnt lgkmcnt(1)
	global_store_short v0, v2, s[10:11]
	s_add_u32 s10, s18, s8
	s_addc_u32 s11, s19, s9
	s_waitcnt lgkmcnt(0)
	global_store_short v0, v1, s[10:11]
	global_store_short v0, v4, s[4:5]
	s_mov_b64 s[10:11], 0
.LBB0_160:
	s_andn2_b64 vcc, exec, s[10:11]
	s_cbranch_vccnz .LBB0_162
; %bb.161:
	s_add_u32 s10, s18, s8
	s_addc_u32 s11, s19, s9
	s_add_u32 s8, s16, s8
	v_mov_b32_e32 v0, 0
	s_addc_u32 s9, s17, s9
	s_waitcnt lgkmcnt(1)
	global_store_short v0, v2, s[10:11]
	s_waitcnt lgkmcnt(0)
	global_store_short v0, v1, s[8:9]
	global_store_short v0, v4, s[4:5]
.LBB0_162:
	s_or_b64 exec, exec, s[2:3]
	s_mov_b64 s[2:3], 0
.LBB0_163:
	s_andn2_b64 vcc, exec, s[2:3]
	s_cbranch_vccnz .LBB0_169
; %bb.164:
	s_and_saveexec_b64 s[2:3], s[0:1]
	s_cbranch_execz .LBB0_169
; %bb.165:
	s_ashr_i32 s7, s6, 31
	s_mov_b64 s[0:1], -1
	s_and_b64 vcc, exec, s[24:25]
	s_cbranch_vccz .LBB0_167
; %bb.166:
	s_lshl_b64 s[0:1], s[6:7], 1
	s_add_u32 s2, s12, s0
	s_addc_u32 s3, s13, s1
	s_add_u32 s0, s14, s0
	v_mov_b32_e32 v0, 0
	s_addc_u32 s1, s15, s1
	s_waitcnt lgkmcnt(1)
	global_store_short v0, v2, s[2:3]
	s_waitcnt lgkmcnt(0)
	global_store_short v0, v1, s[0:1]
	s_mov_b64 s[0:1], 0
.LBB0_167:
	s_andn2_b64 vcc, exec, s[0:1]
	s_cbranch_vccnz .LBB0_169
; %bb.168:
	s_lshl_b64 s[0:1], s[6:7], 1
	s_add_u32 s2, s14, s0
	s_addc_u32 s3, s15, s1
	s_add_u32 s0, s12, s0
	v_mov_b32_e32 v0, 0
	s_addc_u32 s1, s13, s1
	s_waitcnt lgkmcnt(1)
	global_store_short v0, v2, s[2:3]
	s_waitcnt lgkmcnt(0)
	global_store_short v0, v1, s[0:1]
.LBB0_169:
	s_endpgm
	.section	.rodata,"a",@progbits
	.p2align	6, 0x0
	.amdhsa_kernel _Z18sequence_aa_kernelbPKcS0_PKjS2_PsS3_S3_S3_S3_ssPKsS5_
		.amdhsa_group_segment_fixed_size 7872
		.amdhsa_private_segment_fixed_size 0
		.amdhsa_kernarg_size 360
		.amdhsa_user_sgpr_count 6
		.amdhsa_user_sgpr_private_segment_buffer 1
		.amdhsa_user_sgpr_dispatch_ptr 0
		.amdhsa_user_sgpr_queue_ptr 0
		.amdhsa_user_sgpr_kernarg_segment_ptr 1
		.amdhsa_user_sgpr_dispatch_id 0
		.amdhsa_user_sgpr_flat_scratch_init 0
		.amdhsa_user_sgpr_private_segment_size 0
		.amdhsa_uses_dynamic_stack 0
		.amdhsa_system_sgpr_private_segment_wavefront_offset 0
		.amdhsa_system_sgpr_workgroup_id_x 1
		.amdhsa_system_sgpr_workgroup_id_y 0
		.amdhsa_system_sgpr_workgroup_id_z 0
		.amdhsa_system_sgpr_workgroup_info 0
		.amdhsa_system_vgpr_workitem_id 0
		.amdhsa_next_free_vgpr 32
		.amdhsa_next_free_sgpr 61
		.amdhsa_reserve_vcc 1
		.amdhsa_reserve_flat_scratch 0
		.amdhsa_float_round_mode_32 0
		.amdhsa_float_round_mode_16_64 0
		.amdhsa_float_denorm_mode_32 3
		.amdhsa_float_denorm_mode_16_64 3
		.amdhsa_dx10_clamp 1
		.amdhsa_ieee_mode 1
		.amdhsa_fp16_overflow 0
		.amdhsa_exception_fp_ieee_invalid_op 0
		.amdhsa_exception_fp_denorm_src 0
		.amdhsa_exception_fp_ieee_div_zero 0
		.amdhsa_exception_fp_ieee_overflow 0
		.amdhsa_exception_fp_ieee_underflow 0
		.amdhsa_exception_fp_ieee_inexact 0
		.amdhsa_exception_int_div_zero 0
	.end_amdhsa_kernel
	.text
.Lfunc_end0:
	.size	_Z18sequence_aa_kernelbPKcS0_PKjS2_PsS3_S3_S3_S3_ssPKsS5_, .Lfunc_end0-_Z18sequence_aa_kernelbPKcS0_PKjS2_PsS3_S3_S3_S3_ssPKsS5_
                                        ; -- End function
	.set _Z18sequence_aa_kernelbPKcS0_PKjS2_PsS3_S3_S3_S3_ssPKsS5_.num_vgpr, 32
	.set _Z18sequence_aa_kernelbPKcS0_PKjS2_PsS3_S3_S3_S3_ssPKsS5_.num_agpr, 0
	.set _Z18sequence_aa_kernelbPKcS0_PKjS2_PsS3_S3_S3_S3_ssPKsS5_.numbered_sgpr, 42
	.set _Z18sequence_aa_kernelbPKcS0_PKjS2_PsS3_S3_S3_S3_ssPKsS5_.num_named_barrier, 0
	.set _Z18sequence_aa_kernelbPKcS0_PKjS2_PsS3_S3_S3_S3_ssPKsS5_.private_seg_size, 0
	.set _Z18sequence_aa_kernelbPKcS0_PKjS2_PsS3_S3_S3_S3_ssPKsS5_.uses_vcc, 1
	.set _Z18sequence_aa_kernelbPKcS0_PKjS2_PsS3_S3_S3_S3_ssPKsS5_.uses_flat_scratch, 0
	.set _Z18sequence_aa_kernelbPKcS0_PKjS2_PsS3_S3_S3_S3_ssPKsS5_.has_dyn_sized_stack, 0
	.set _Z18sequence_aa_kernelbPKcS0_PKjS2_PsS3_S3_S3_S3_ssPKsS5_.has_recursion, 0
	.set _Z18sequence_aa_kernelbPKcS0_PKjS2_PsS3_S3_S3_S3_ssPKsS5_.has_indirect_call, 0
	.section	.AMDGPU.csdata,"",@progbits
; Kernel info:
; codeLenInByte = 5508
; TotalNumSgprs: 46
; NumVgprs: 32
; ScratchSize: 0
; MemoryBound: 0
; FloatMode: 240
; IeeeMode: 1
; LDSByteSize: 7872 bytes/workgroup (compile time only)
; SGPRBlocks: 8
; VGPRBlocks: 7
; NumSGPRsForWavesPerEU: 65
; NumVGPRsForWavesPerEU: 32
; Occupancy: 8
; WaveLimiterHint : 0
; COMPUTE_PGM_RSRC2:SCRATCH_EN: 0
; COMPUTE_PGM_RSRC2:USER_SGPR: 6
; COMPUTE_PGM_RSRC2:TRAP_HANDLER: 0
; COMPUTE_PGM_RSRC2:TGID_X_EN: 1
; COMPUTE_PGM_RSRC2:TGID_Y_EN: 0
; COMPUTE_PGM_RSRC2:TGID_Z_EN: 0
; COMPUTE_PGM_RSRC2:TIDIG_COMP_CNT: 0
	.section	.AMDGPU.gpr_maximums,"",@progbits
	.set amdgpu.max_num_vgpr, 0
	.set amdgpu.max_num_agpr, 0
	.set amdgpu.max_num_sgpr, 0
	.section	.AMDGPU.csdata,"",@progbits
	.type	__hip_cuid_fa87cb8b3dac28f5,@object ; @__hip_cuid_fa87cb8b3dac28f5
	.section	.bss,"aw",@nobits
	.globl	__hip_cuid_fa87cb8b3dac28f5
__hip_cuid_fa87cb8b3dac28f5:
	.byte	0                               ; 0x0
	.size	__hip_cuid_fa87cb8b3dac28f5, 1

	.ident	"AMD clang version 22.0.0git (https://github.com/RadeonOpenCompute/llvm-project roc-7.2.4 26084 f58b06dce1f9c15707c5f808fd002e18c2accf7e)"
	.section	".note.GNU-stack","",@progbits
	.addrsig
	.addrsig_sym __hip_cuid_fa87cb8b3dac28f5
	.amdgpu_metadata
---
amdhsa.kernels:
  - .args:
      - .offset:         0
        .size:           1
        .value_kind:     by_value
      - .actual_access:  read_only
        .address_space:  global
        .offset:         8
        .size:           8
        .value_kind:     global_buffer
      - .actual_access:  read_only
        .address_space:  global
        .offset:         16
        .size:           8
        .value_kind:     global_buffer
      - .actual_access:  read_only
        .address_space:  global
        .offset:         24
        .size:           8
        .value_kind:     global_buffer
      - .actual_access:  read_only
        .address_space:  global
        .offset:         32
        .size:           8
        .value_kind:     global_buffer
      - .actual_access:  write_only
        .address_space:  global
        .offset:         40
        .size:           8
        .value_kind:     global_buffer
      - .address_space:  global
        .offset:         48
        .size:           8
        .value_kind:     global_buffer
      - .actual_access:  write_only
        .address_space:  global
        .offset:         56
        .size:           8
        .value_kind:     global_buffer
      - .address_space:  global
        .offset:         64
        .size:           8
        .value_kind:     global_buffer
      - .actual_access:  write_only
        .address_space:  global
        .offset:         72
        .size:           8
        .value_kind:     global_buffer
      - .offset:         80
        .size:           2
        .value_kind:     by_value
      - .offset:         82
        .size:           2
        .value_kind:     by_value
      - .actual_access:  read_only
        .address_space:  global
        .offset:         88
        .size:           8
        .value_kind:     global_buffer
      - .actual_access:  read_only
        .address_space:  global
        .offset:         96
        .size:           8
        .value_kind:     global_buffer
      - .offset:         104
        .size:           4
        .value_kind:     hidden_block_count_x
      - .offset:         108
        .size:           4
        .value_kind:     hidden_block_count_y
      - .offset:         112
        .size:           4
        .value_kind:     hidden_block_count_z
      - .offset:         116
        .size:           2
        .value_kind:     hidden_group_size_x
      - .offset:         118
        .size:           2
        .value_kind:     hidden_group_size_y
      - .offset:         120
        .size:           2
        .value_kind:     hidden_group_size_z
      - .offset:         122
        .size:           2
        .value_kind:     hidden_remainder_x
      - .offset:         124
        .size:           2
        .value_kind:     hidden_remainder_y
      - .offset:         126
        .size:           2
        .value_kind:     hidden_remainder_z
      - .offset:         144
        .size:           8
        .value_kind:     hidden_global_offset_x
      - .offset:         152
        .size:           8
        .value_kind:     hidden_global_offset_y
      - .offset:         160
        .size:           8
        .value_kind:     hidden_global_offset_z
      - .offset:         168
        .size:           2
        .value_kind:     hidden_grid_dims
      - .offset:         224
        .size:           4
        .value_kind:     hidden_dynamic_lds_size
    .group_segment_fixed_size: 7872
    .kernarg_segment_align: 8
    .kernarg_segment_size: 360
    .language:       OpenCL C
    .language_version:
      - 2
      - 0
    .max_flat_workgroup_size: 1024
    .name:           _Z18sequence_aa_kernelbPKcS0_PKjS2_PsS3_S3_S3_S3_ssPKsS5_
    .private_segment_fixed_size: 0
    .sgpr_count:     46
    .sgpr_spill_count: 0
    .symbol:         _Z18sequence_aa_kernelbPKcS0_PKjS2_PsS3_S3_S3_S3_ssPKsS5_.kd
    .uniform_work_group_size: 1
    .uses_dynamic_stack: false
    .vgpr_count:     32
    .vgpr_spill_count: 0
    .wavefront_size: 64
amdhsa.target:   amdgcn-amd-amdhsa--gfx906
amdhsa.version:
  - 1
  - 2
...

	.end_amdgpu_metadata
